;; amdgpu-corpus repo=zjin-lcf/HeCBench kind=compiled arch=gfx1250 opt=O3
	.amdgcn_target "amdgcn-amd-amdhsa--gfx1250"
	.amdhsa_code_object_version 6
	.text
	.protected	_Z5gaborPdjjdddddddd    ; -- Begin function _Z5gaborPdjjdddddddd
	.globl	_Z5gaborPdjjdddddddd
	.p2align	8
	.type	_Z5gaborPdjjdddddddd,@function
_Z5gaborPdjjdddddddd:                   ; @_Z5gaborPdjjdddddddd
; %bb.0:
	s_clause 0x1
	s_load_b32 s2, s[0:1], 0x5c
	s_load_b64 s[20:21], s[0:1], 0x8
	s_bfe_u32 s4, ttmp6, 0x4000c
	s_bfe_u32 s5, ttmp6, 0x40010
	s_add_co_i32 s4, s4, 1
	s_add_co_i32 s5, s5, 1
	s_and_b32 s3, ttmp6, 15
	s_bfe_u32 s6, ttmp6, 0x40004
	s_mul_i32 s4, ttmp9, s4
	s_mul_i32 s5, ttmp7, s5
	s_getreg_b32 s7, hwreg(HW_REG_IB_STS2, 6, 4)
	v_and_b32_e32 v1, 0x3ff, v0
	v_bfe_u32 v0, v0, 10, 10
	s_add_co_i32 s3, s3, s4
	s_add_co_i32 s6, s6, s5
	s_wait_kmcnt 0x0
	s_lshr_b32 s4, s2, 16
	s_and_b32 s2, s2, 0xffff
	s_cmp_eq_u32 s7, 0
	s_cselect_b32 s3, ttmp9, s3
	s_cselect_b32 s5, ttmp7, s6
	v_mad_u32 v12, s3, s2, v1
	v_mad_u32 v13, s5, s4, v0
	s_delay_alu instid0(VALU_DEP_2) | instskip(NEXT) | instid1(VALU_DEP_2)
	v_cmp_gt_u32_e32 vcc_lo, s21, v12
	v_cmp_gt_u32_e64 s2, s20, v13
	s_and_b32 s2, vcc_lo, s2
	s_delay_alu instid0(SALU_CYCLE_1)
	s_and_saveexec_b32 s3, s2
	s_cbranch_execz .LBB0_6
; %bb.1:
	v_cvt_f64_i32_e32 v[0:1], v13
	s_load_b512 s[4:19], s[0:1], 0x10
	v_cvt_f64_i32_e32 v[2:3], v12
	s_mov_b64 s[2:3], 0x401921fb54442d18
                                        ; implicit-def: $vgpr14
                                        ; implicit-def: $vgpr8_vgpr9
                                        ; implicit-def: $vgpr10_vgpr11
	s_wait_kmcnt 0x0
	s_delay_alu instid0(VALU_DEP_2) | instskip(NEXT) | instid1(VALU_DEP_2)
	v_add_f64_e64 v[4:5], v[0:1], -s[4:5]
	v_add_f64_e64 v[2:3], v[2:3], -s[6:7]
	s_delay_alu instid0(VALU_DEP_2) | instskip(NEXT) | instid1(VALU_DEP_1)
	v_mul_f64_e32 v[0:1], s[10:11], v[4:5]
	v_fma_f64 v[6:7], s[8:9], v[2:3], -v[0:1]
	v_mul_f64_e64 v[0:1], s[18:19], s[2:3]
	s_delay_alu instid0(VALU_DEP_1) | instskip(NEXT) | instid1(VALU_DEP_1)
	v_mul_f64_e32 v[0:1], v[0:1], v[6:7]
	v_cmp_ngt_f64_e64 s2, 0x41d00000, |v[0:1]|
	s_and_saveexec_b32 s3, s2
	s_delay_alu instid0(SALU_CYCLE_1)
	s_xor_b32 s2, exec_lo, s3
	s_cbranch_execz .LBB0_3
; %bb.2:
	v_ldexp_f64 v[8:9], |v[0:1]|, 0xffffff80
	v_cmp_le_f64_e64 vcc_lo, 0x7b000000, |v[0:1]|
	v_trig_preop_f64 v[10:11], |v[0:1]|, 0
	v_and_b32_e32 v14, 0x7fffffff, v1
	v_trig_preop_f64 v[24:25], |v[0:1]|, 2
	s_mov_b64 s[4:5], 0x3ff921fb54442d18
	s_delay_alu instid0(VALU_DEP_2) | instskip(SKIP_2) | instid1(VALU_DEP_2)
	v_dual_mov_b32 v32, 0 :: v_dual_cndmask_b32 v9, v14, v9
	v_cndmask_b32_e32 v8, v0, v8, vcc_lo
	v_trig_preop_f64 v[14:15], |v[0:1]|, 1
	v_mul_f64_e32 v[16:17], v[10:11], v[8:9]
	v_mul_f64_e32 v[30:31], v[24:25], v[8:9]
	s_delay_alu instid0(VALU_DEP_3) | instskip(NEXT) | instid1(VALU_DEP_3)
	v_mul_f64_e32 v[18:19], v[14:15], v[8:9]
	v_fma_f64 v[10:11], v[10:11], v[8:9], -v[16:17]
	s_delay_alu instid0(VALU_DEP_2) | instskip(NEXT) | instid1(VALU_DEP_4)
	v_fma_f64 v[14:15], v[14:15], v[8:9], -v[18:19]
	v_fma_f64 v[8:9], v[24:25], v[8:9], -v[30:31]
	s_delay_alu instid0(VALU_DEP_3) | instskip(NEXT) | instid1(VALU_DEP_1)
	v_add_f64_e32 v[20:21], v[18:19], v[10:11]
	v_add_f64_e64 v[22:23], v[20:21], -v[18:19]
	v_add_f64_e32 v[28:29], v[16:17], v[20:21]
	s_delay_alu instid0(VALU_DEP_2) | instskip(SKIP_1) | instid1(VALU_DEP_3)
	v_add_f64_e64 v[26:27], v[20:21], -v[22:23]
	v_add_f64_e64 v[10:11], v[10:11], -v[22:23]
	v_ldexp_f64 v[22:23], v[28:29], -2
	s_delay_alu instid0(VALU_DEP_3) | instskip(SKIP_1) | instid1(VALU_DEP_3)
	v_add_f64_e64 v[18:19], v[18:19], -v[26:27]
	v_add_f64_e32 v[26:27], v[30:31], v[14:15]
	v_cmp_neq_f64_e64 vcc_lo, 0x7ff00000, |v[22:23]|
	s_delay_alu instid0(VALU_DEP_3) | instskip(SKIP_1) | instid1(VALU_DEP_1)
	v_add_f64_e32 v[10:11], v[10:11], v[18:19]
	v_fract_f64_e32 v[18:19], v[22:23]
	v_ldexp_f64 v[18:19], v[18:19], 2
	s_delay_alu instid0(VALU_DEP_1) | instskip(NEXT) | instid1(VALU_DEP_1)
	v_dual_add_f64 v[16:17], v[28:29], -v[16:17] :: v_dual_cndmask_b32 v19, 0, v19, vcc_lo
	v_dual_add_f64 v[16:17], v[20:21], -v[16:17] :: v_dual_cndmask_b32 v18, 0, v18, vcc_lo
	v_add_f64_e32 v[20:21], v[26:27], v[10:11]
	s_delay_alu instid0(VALU_DEP_1) | instskip(SKIP_1) | instid1(VALU_DEP_2)
	v_add_f64_e32 v[22:23], v[16:17], v[20:21]
	v_add_f64_e64 v[34:35], v[20:21], -v[26:27]
	v_add_f64_e32 v[28:29], v[22:23], v[18:19]
	s_delay_alu instid0(VALU_DEP_2) | instskip(SKIP_2) | instid1(VALU_DEP_4)
	v_add_f64_e64 v[40:41], v[20:21], -v[34:35]
	v_add_f64_e64 v[10:11], v[10:11], -v[34:35]
	v_add_f64_e64 v[16:17], v[22:23], -v[16:17]
	v_cmp_gt_f64_e32 vcc_lo, 0, v[28:29]
	v_add_f64_e64 v[28:29], v[26:27], -v[30:31]
	v_cndmask_b32_e64 v33, 0, 0x40100000, vcc_lo
	s_delay_alu instid0(VALU_DEP_2) | instskip(SKIP_2) | instid1(VALU_DEP_4)
	v_add_f64_e64 v[38:39], v[26:27], -v[28:29]
	v_add_f64_e64 v[14:15], v[14:15], -v[28:29]
	;; [unrolled: 1-line block ×3, first 2 shown]
	v_add_f64_e32 v[18:19], v[18:19], v[32:33]
	s_delay_alu instid0(VALU_DEP_4) | instskip(NEXT) | instid1(VALU_DEP_3)
	v_add_f64_e64 v[28:29], v[30:31], -v[38:39]
	v_add_f64_e32 v[10:11], v[10:11], v[26:27]
	s_delay_alu instid0(VALU_DEP_3) | instskip(NEXT) | instid1(VALU_DEP_3)
	v_add_f64_e32 v[36:37], v[22:23], v[18:19]
	v_add_f64_e32 v[14:15], v[14:15], v[28:29]
	s_delay_alu instid0(VALU_DEP_2) | instskip(NEXT) | instid1(VALU_DEP_2)
	v_cvt_i32_f64_e32 v33, v[36:37]
	v_add_f64_e32 v[10:11], v[14:15], v[10:11]
	v_add_f64_e64 v[14:15], v[20:21], -v[16:17]
	s_delay_alu instid0(VALU_DEP_3) | instskip(NEXT) | instid1(VALU_DEP_3)
	v_cvt_f64_i32_e32 v[34:35], v33
	v_add_f64_e32 v[8:9], v[8:9], v[10:11]
	s_delay_alu instid0(VALU_DEP_2) | instskip(NEXT) | instid1(VALU_DEP_2)
	v_add_f64_e64 v[18:19], v[18:19], -v[34:35]
	v_add_f64_e32 v[8:9], v[14:15], v[8:9]
	s_delay_alu instid0(VALU_DEP_2) | instskip(NEXT) | instid1(VALU_DEP_1)
	v_add_f64_e32 v[24:25], v[22:23], v[18:19]
	v_add_f64_e64 v[10:11], v[24:25], -v[18:19]
	v_cmp_le_f64_e32 vcc_lo, 0.5, v[24:25]
	s_delay_alu instid0(VALU_DEP_2) | instskip(SKIP_2) | instid1(VALU_DEP_3)
	v_add_f64_e64 v[10:11], v[22:23], -v[10:11]
	v_add_co_ci_u32_e64 v14, null, 0, v33, vcc_lo
	v_cndmask_b32_e64 v33, 0, 0x3ff00000, vcc_lo
	v_add_f64_e32 v[8:9], v[8:9], v[10:11]
	s_delay_alu instid0(VALU_DEP_2) | instskip(NEXT) | instid1(VALU_DEP_1)
	v_add_f64_e64 v[10:11], v[24:25], -v[32:33]
	v_add_f64_e32 v[16:17], v[10:11], v[8:9]
	s_delay_alu instid0(VALU_DEP_1) | instskip(SKIP_1) | instid1(VALU_DEP_2)
	v_mul_f64_e32 v[18:19], 0x3ff921fb54442d18, v[16:17]
	v_add_f64_e64 v[10:11], v[16:17], -v[10:11]
	v_fma_f64 v[20:21], v[16:17], s[4:5], -v[18:19]
	s_delay_alu instid0(VALU_DEP_2) | instskip(NEXT) | instid1(VALU_DEP_2)
	v_add_f64_e64 v[8:9], v[8:9], -v[10:11]
	v_fmamk_f64 v[10:11], v[16:17], 0x3c91a62633145c07, v[20:21]
	s_delay_alu instid0(VALU_DEP_1) | instskip(NEXT) | instid1(VALU_DEP_1)
	v_fmac_f64_e32 v[10:11], 0x3ff921fb54442d18, v[8:9]
	v_add_f64_e32 v[8:9], v[18:19], v[10:11]
	s_delay_alu instid0(VALU_DEP_1) | instskip(NEXT) | instid1(VALU_DEP_1)
	v_add_f64_e64 v[16:17], v[8:9], -v[18:19]
	v_add_f64_e64 v[10:11], v[10:11], -v[16:17]
.LBB0_3:
	s_and_not1_saveexec_b32 s2, s2
	s_cbranch_execz .LBB0_5
; %bb.4:
	s_mov_b64 s[4:5], 0x3fe45f306dc9c883
	s_delay_alu instid0(SALU_CYCLE_1) | instskip(SKIP_1) | instid1(VALU_DEP_1)
	v_mul_f64_e64 v[8:9], |v[0:1]|, s[4:5]
	s_mov_b64 s[4:5], 0xbff921fb54442d18
	v_rndne_f64_e32 v[14:15], v[8:9]
	s_delay_alu instid0(VALU_DEP_1) | instskip(SKIP_1) | instid1(VALU_DEP_2)
	v_fma_f64 v[8:9], v[14:15], s[4:5], |v[0:1]|
	v_mul_f64_e32 v[10:11], 0xbc91a62633145c00, v[14:15]
	v_fmamk_f64 v[20:21], v[14:15], 0xbc91a62633145c00, v[8:9]
	s_delay_alu instid0(VALU_DEP_2) | instskip(NEXT) | instid1(VALU_DEP_1)
	v_add_f64_e32 v[16:17], v[8:9], v[10:11]
	v_add_f64_e64 v[18:19], v[8:9], -v[16:17]
	s_delay_alu instid0(VALU_DEP_3) | instskip(NEXT) | instid1(VALU_DEP_2)
	v_add_f64_e64 v[8:9], v[16:17], -v[20:21]
	v_add_f64_e32 v[16:17], v[18:19], v[10:11]
	v_fmamk_f64 v[10:11], v[14:15], 0x3c91a62633145c00, v[10:11]
	s_delay_alu instid0(VALU_DEP_2) | instskip(NEXT) | instid1(VALU_DEP_1)
	v_add_f64_e32 v[8:9], v[8:9], v[16:17]
	v_add_f64_e64 v[8:9], v[8:9], -v[10:11]
	s_delay_alu instid0(VALU_DEP_1) | instskip(SKIP_1) | instid1(VALU_DEP_2)
	v_fmamk_f64 v[10:11], v[14:15], 0xb97b839a252049c0, v[8:9]
	v_cvt_i32_f64_e32 v14, v[14:15]
	v_add_f64_e32 v[8:9], v[20:21], v[10:11]
	s_delay_alu instid0(VALU_DEP_1) | instskip(NEXT) | instid1(VALU_DEP_1)
	v_add_f64_e64 v[16:17], v[8:9], -v[20:21]
	v_add_f64_e64 v[10:11], v[10:11], -v[16:17]
.LBB0_5:
	s_or_b32 exec_lo, exec_lo, s2
	v_mul_f64_e32 v[4:5], s[8:9], v[4:5]
	s_load_b64 s[0:1], s[0:1], 0x0
	s_delay_alu instid0(VALU_DEP_1) | instskip(SKIP_1) | instid1(VALU_DEP_2)
	v_fmac_f64_e32 v[4:5], s[10:11], v[2:3]
	v_mul_f64_e32 v[2:3], v[6:7], v[6:7]
	v_mul_f64_e32 v[4:5], v[4:5], v[4:5]
	s_delay_alu instid0(VALU_DEP_2) | instskip(SKIP_1) | instid1(VALU_DEP_3)
	v_div_scale_f64 v[6:7], null, s[14:15], s[14:15], v[2:3]
	v_div_scale_f64 v[26:27], vcc_lo, v[2:3], s[14:15], v[2:3]
	v_div_scale_f64 v[16:17], null, s[16:17], s[16:17], v[4:5]
	s_delay_alu instid0(VALU_DEP_3) | instskip(NEXT) | instid1(VALU_DEP_1)
	v_rcp_f64_e32 v[18:19], v[6:7]
	v_rcp_f64_e32 v[20:21], v[16:17]
	s_delay_alu instid0(TRANS32_DEP_2) | instskip(NEXT) | instid1(TRANS32_DEP_1)
	v_fma_f64 v[22:23], -v[6:7], v[18:19], 1.0
	v_fma_f64 v[24:25], -v[16:17], v[20:21], 1.0
	s_delay_alu instid0(VALU_DEP_2) | instskip(NEXT) | instid1(VALU_DEP_2)
	v_fmac_f64_e32 v[18:19], v[18:19], v[22:23]
	v_fmac_f64_e32 v[20:21], v[20:21], v[24:25]
	s_delay_alu instid0(VALU_DEP_2) | instskip(NEXT) | instid1(VALU_DEP_2)
	v_fma_f64 v[22:23], -v[6:7], v[18:19], 1.0
	v_fma_f64 v[24:25], -v[16:17], v[20:21], 1.0
	s_delay_alu instid0(VALU_DEP_2) | instskip(SKIP_1) | instid1(VALU_DEP_3)
	v_fmac_f64_e32 v[18:19], v[18:19], v[22:23]
	v_div_scale_f64 v[22:23], s2, v[4:5], s[16:17], v[4:5]
	v_fmac_f64_e32 v[20:21], v[20:21], v[24:25]
	s_delay_alu instid0(VALU_DEP_3) | instskip(NEXT) | instid1(VALU_DEP_2)
	v_mul_f64_e32 v[24:25], v[26:27], v[18:19]
	v_mul_f64_e32 v[28:29], v[22:23], v[20:21]
	s_delay_alu instid0(VALU_DEP_2) | instskip(SKIP_1) | instid1(VALU_DEP_3)
	v_fma_f64 v[6:7], -v[6:7], v[24:25], v[26:27]
	v_mul_f64_e32 v[26:27], 0.5, v[10:11]
	v_fma_f64 v[16:17], -v[16:17], v[28:29], v[22:23]
	s_delay_alu instid0(VALU_DEP_3) | instskip(SKIP_2) | instid1(VALU_DEP_2)
	v_div_fmas_f64 v[6:7], v[6:7], v[18:19], v[24:25]
	s_mov_b32 vcc_lo, s2
	s_mov_b64 s[2:3], 0x3e5ade156a5dcb37
	v_div_fmas_f64 v[16:17], v[16:17], v[20:21], v[28:29]
	s_delay_alu instid0(VALU_DEP_2) | instskip(SKIP_1) | instid1(VALU_DEP_3)
	v_div_fixup_f64 v[2:3], v[6:7], s[14:15], v[2:3]
	v_mul_f64_e32 v[6:7], v[8:9], v[8:9]
	v_div_fixup_f64 v[4:5], v[16:17], s[16:17], v[4:5]
	s_delay_alu instid0(VALU_DEP_2) | instskip(NEXT) | instid1(VALU_DEP_2)
	v_mul_f64_e64 v[28:29], v[8:9], -v[6:7]
	v_add_f64_e32 v[2:3], v[2:3], v[4:5]
	s_delay_alu instid0(VALU_DEP_1) | instskip(NEXT) | instid1(VALU_DEP_1)
	v_mul_f64_e32 v[2:3], -0.5, v[2:3]
	v_mul_f64_e32 v[4:5], 0x3ff71547652b82fe, v[2:3]
	v_cmp_nlt_f64_e32 vcc_lo, 0x40900000, v[2:3]
	s_delay_alu instid0(VALU_DEP_2) | instskip(NEXT) | instid1(VALU_DEP_1)
	v_rndne_f64_e32 v[4:5], v[4:5]
	v_fmamk_f64 v[18:19], v[4:5], 0xbfe62e42fefa39ef, v[2:3]
	v_cvt_i32_f64_e32 v15, v[4:5]
	s_delay_alu instid0(VALU_DEP_2) | instskip(NEXT) | instid1(VALU_DEP_1)
	v_fmamk_f64 v[18:19], v[4:5], 0xbc7abc9e3b39803f, v[18:19]
	v_fmaak_f64 v[22:23], s[2:3], v[18:19], 0x3e928af3fca7ab0c
	s_mov_b64 s[2:3], 0x3de5e0b2f9a43bb8
	s_delay_alu instid0(SALU_CYCLE_1) | instskip(SKIP_1) | instid1(VALU_DEP_2)
	v_fmaak_f64 v[30:31], s[2:3], v[6:7], 0xbe5ae600b42fdfa7
	s_mov_b64 s[2:3], 0xbda907db46cc5e42
	v_fmaak_f64 v[22:23], v[18:19], v[22:23], 0x3ec71dee623fde64
	s_delay_alu instid0(VALU_DEP_1) | instskip(NEXT) | instid1(VALU_DEP_1)
	v_fmaak_f64 v[22:23], v[18:19], v[22:23], 0x3efa01997c89e6b0
	v_fmaak_f64 v[22:23], v[18:19], v[22:23], 0x3f2a01a014761f6e
	s_delay_alu instid0(VALU_DEP_1) | instskip(NEXT) | instid1(VALU_DEP_1)
	v_fmaak_f64 v[22:23], v[18:19], v[22:23], 0x3f56c16c1852b7b0
	;; [unrolled: 3-line block ×4, first 2 shown]
	v_fma_f64 v[22:23], v[18:19], v[22:23], 1.0
	s_delay_alu instid0(VALU_DEP_1) | instskip(NEXT) | instid1(VALU_DEP_1)
	v_fma_f64 v[4:5], v[18:19], v[22:23], 1.0
	v_ldexp_f64 v[4:5], v[4:5], v15
	v_mul_f64_e32 v[16:17], -0.5, v[6:7]
	s_delay_alu instid0(VALU_DEP_2) | instskip(NEXT) | instid1(VALU_DEP_2)
	v_cndmask_b32_e32 v5, 0x7ff00000, v5, vcc_lo
	v_add_f64_e32 v[20:21], 1.0, v[16:17]
	s_delay_alu instid0(VALU_DEP_1) | instskip(NEXT) | instid1(VALU_DEP_1)
	v_add_f64_e64 v[24:25], -v[20:21], 1.0
	v_add_f64_e32 v[16:17], v[24:25], v[16:17]
	v_fmaak_f64 v[24:25], v[6:7], v[30:31], 0x3ec71de3796cde01
	v_mul_f64_e32 v[30:31], v[6:7], v[6:7]
	s_delay_alu instid0(VALU_DEP_2) | instskip(NEXT) | instid1(VALU_DEP_1)
	v_fmaak_f64 v[24:25], v[6:7], v[24:25], 0xbf2a01a019e83e5c
	v_fmaak_f64 v[24:25], v[6:7], v[24:25], 0x3f81111111110bb3
	s_delay_alu instid0(VALU_DEP_1) | instskip(SKIP_3) | instid1(VALU_DEP_1)
	v_fmac_f64_e32 v[26:27], v[28:29], v[24:25]
	v_fmaak_f64 v[24:25], s[2:3], v[6:7], 0x3e21eeb69037ab78
	v_cmp_ngt_f64_e64 s2, 0xc090cc00, v[2:3]
	v_and_b32_e32 v2, 1, v14
	v_cmp_eq_u32_e64 s3, 0, v2
	s_delay_alu instid0(VALU_DEP_4) | instskip(SKIP_1) | instid1(VALU_DEP_2)
	v_fmaak_f64 v[18:19], v[6:7], v[24:25], 0xbe927e4fa17f65f6
	v_fma_f64 v[16:17], v[8:9], -v[10:11], v[16:17]
	v_fmaak_f64 v[18:19], v[6:7], v[18:19], 0x3efa01a019f4ec90
	s_delay_alu instid0(VALU_DEP_1) | instskip(SKIP_1) | instid1(VALU_DEP_2)
	v_fmaak_f64 v[18:19], v[6:7], v[18:19], 0xbf56c16c16c16967
	v_fma_f64 v[10:11], v[6:7], v[26:27], -v[10:11]
	v_fmaak_f64 v[6:7], v[6:7], v[18:19], 0x3fa5555555555555
	s_and_b32 vcc_lo, s2, vcc_lo
	s_delay_alu instid0(SALU_CYCLE_1) | instskip(SKIP_1) | instid1(VALU_DEP_2)
	v_dual_cndmask_b32 v3, 0, v5, s2 :: v_dual_cndmask_b32 v2, 0, v4, vcc_lo
	v_cmp_class_f64_e64 vcc_lo, v[0:1], 0x1f8
	v_mul_f64_e32 v[0:1], s[12:13], v[2:3]
	s_delay_alu instid0(VALU_DEP_4) | instskip(SKIP_2) | instid1(VALU_DEP_1)
	v_fmac_f64_e32 v[16:17], v[30:31], v[6:7]
	v_lshlrev_b32_e32 v3, 30, v14
	v_fmamk_f64 v[6:7], v[28:29], 0xbfc5555555555555, v[10:11]
	v_add_f64_e64 v[6:7], v[8:9], -v[6:7]
	s_delay_alu instid0(VALU_DEP_4) | instskip(NEXT) | instid1(VALU_DEP_2)
	v_add_f64_e32 v[8:9], v[20:21], v[16:17]
	v_xor_b32_e32 v2, 0x80000000, v7
	s_delay_alu instid0(VALU_DEP_2) | instskip(NEXT) | instid1(VALU_DEP_2)
	v_cndmask_b32_e64 v6, v6, v8, s3
	v_cndmask_b32_e64 v2, v2, v9, s3
	s_delay_alu instid0(VALU_DEP_1) | instskip(NEXT) | instid1(VALU_DEP_3)
	v_bitop3_b32 v3, v2, v3, 0x80000000 bitop3:0x78
	v_cndmask_b32_e32 v2, 0, v6, vcc_lo
	s_delay_alu instid0(VALU_DEP_2) | instskip(NEXT) | instid1(VALU_DEP_1)
	v_cndmask_b32_e32 v3, 0x7ff80000, v3, vcc_lo
	v_mul_f64_e32 v[0:1], v[0:1], v[2:3]
	v_mad_u32 v2, v13, s21, v12
	s_wait_kmcnt 0x0
	global_store_b64 v2, v[0:1], s[0:1] scale_offset
.LBB0_6:
	s_endpgm
	.section	.rodata,"a",@progbits
	.p2align	6, 0x0
	.amdhsa_kernel _Z5gaborPdjjdddddddd
		.amdhsa_group_segment_fixed_size 0
		.amdhsa_private_segment_fixed_size 0
		.amdhsa_kernarg_size 336
		.amdhsa_user_sgpr_count 2
		.amdhsa_user_sgpr_dispatch_ptr 0
		.amdhsa_user_sgpr_queue_ptr 0
		.amdhsa_user_sgpr_kernarg_segment_ptr 1
		.amdhsa_user_sgpr_dispatch_id 0
		.amdhsa_user_sgpr_kernarg_preload_length 0
		.amdhsa_user_sgpr_kernarg_preload_offset 0
		.amdhsa_user_sgpr_private_segment_size 0
		.amdhsa_wavefront_size32 1
		.amdhsa_uses_dynamic_stack 0
		.amdhsa_enable_private_segment 0
		.amdhsa_system_sgpr_workgroup_id_x 1
		.amdhsa_system_sgpr_workgroup_id_y 1
		.amdhsa_system_sgpr_workgroup_id_z 0
		.amdhsa_system_sgpr_workgroup_info 0
		.amdhsa_system_vgpr_workitem_id 1
		.amdhsa_next_free_vgpr 42
		.amdhsa_next_free_sgpr 22
		.amdhsa_named_barrier_count 0
		.amdhsa_reserve_vcc 1
		.amdhsa_float_round_mode_32 0
		.amdhsa_float_round_mode_16_64 0
		.amdhsa_float_denorm_mode_32 3
		.amdhsa_float_denorm_mode_16_64 3
		.amdhsa_fp16_overflow 0
		.amdhsa_memory_ordered 1
		.amdhsa_forward_progress 1
		.amdhsa_inst_pref_size 16
		.amdhsa_round_robin_scheduling 0
		.amdhsa_exception_fp_ieee_invalid_op 0
		.amdhsa_exception_fp_denorm_src 0
		.amdhsa_exception_fp_ieee_div_zero 0
		.amdhsa_exception_fp_ieee_overflow 0
		.amdhsa_exception_fp_ieee_underflow 0
		.amdhsa_exception_fp_ieee_inexact 0
		.amdhsa_exception_int_div_zero 0
	.end_amdhsa_kernel
	.text
.Lfunc_end0:
	.size	_Z5gaborPdjjdddddddd, .Lfunc_end0-_Z5gaborPdjjdddddddd
                                        ; -- End function
	.set _Z5gaborPdjjdddddddd.num_vgpr, 42
	.set _Z5gaborPdjjdddddddd.num_agpr, 0
	.set _Z5gaborPdjjdddddddd.numbered_sgpr, 22
	.set _Z5gaborPdjjdddddddd.num_named_barrier, 0
	.set _Z5gaborPdjjdddddddd.private_seg_size, 0
	.set _Z5gaborPdjjdddddddd.uses_vcc, 1
	.set _Z5gaborPdjjdddddddd.uses_flat_scratch, 0
	.set _Z5gaborPdjjdddddddd.has_dyn_sized_stack, 0
	.set _Z5gaborPdjjdddddddd.has_recursion, 0
	.set _Z5gaborPdjjdddddddd.has_indirect_call, 0
	.section	.AMDGPU.csdata,"",@progbits
; Kernel info:
; codeLenInByte = 1952
; TotalNumSgprs: 24
; NumVgprs: 42
; ScratchSize: 0
; MemoryBound: 0
; FloatMode: 240
; IeeeMode: 1
; LDSByteSize: 0 bytes/workgroup (compile time only)
; SGPRBlocks: 0
; VGPRBlocks: 2
; NumSGPRsForWavesPerEU: 24
; NumVGPRsForWavesPerEU: 42
; NamedBarCnt: 0
; Occupancy: 16
; WaveLimiterHint : 0
; COMPUTE_PGM_RSRC2:SCRATCH_EN: 0
; COMPUTE_PGM_RSRC2:USER_SGPR: 2
; COMPUTE_PGM_RSRC2:TRAP_HANDLER: 0
; COMPUTE_PGM_RSRC2:TGID_X_EN: 1
; COMPUTE_PGM_RSRC2:TGID_Y_EN: 1
; COMPUTE_PGM_RSRC2:TGID_Z_EN: 0
; COMPUTE_PGM_RSRC2:TIDIG_COMP_CNT: 1
	.text
	.p2alignl 7, 3214868480
	.fill 96, 4, 3214868480
	.section	.AMDGPU.gpr_maximums,"",@progbits
	.set amdgpu.max_num_vgpr, 0
	.set amdgpu.max_num_agpr, 0
	.set amdgpu.max_num_sgpr, 0
	.text
	.type	__hip_cuid_729bc91f6a635cc3,@object ; @__hip_cuid_729bc91f6a635cc3
	.section	.bss,"aw",@nobits
	.globl	__hip_cuid_729bc91f6a635cc3
__hip_cuid_729bc91f6a635cc3:
	.byte	0                               ; 0x0
	.size	__hip_cuid_729bc91f6a635cc3, 1

	.ident	"AMD clang version 22.0.0git (https://github.com/RadeonOpenCompute/llvm-project roc-7.2.4 26084 f58b06dce1f9c15707c5f808fd002e18c2accf7e)"
	.section	".note.GNU-stack","",@progbits
	.addrsig
	.addrsig_sym __hip_cuid_729bc91f6a635cc3
	.amdgpu_metadata
---
amdhsa.kernels:
  - .args:
      - .address_space:  global
        .offset:         0
        .size:           8
        .value_kind:     global_buffer
      - .offset:         8
        .size:           4
        .value_kind:     by_value
      - .offset:         12
        .size:           4
        .value_kind:     by_value
      - .offset:         16
        .size:           8
        .value_kind:     by_value
      - .offset:         24
        .size:           8
        .value_kind:     by_value
      - .offset:         32
        .size:           8
        .value_kind:     by_value
      - .offset:         40
        .size:           8
        .value_kind:     by_value
      - .offset:         48
        .size:           8
        .value_kind:     by_value
      - .offset:         56
        .size:           8
        .value_kind:     by_value
      - .offset:         64
        .size:           8
        .value_kind:     by_value
      - .offset:         72
        .size:           8
        .value_kind:     by_value
      - .offset:         80
        .size:           4
        .value_kind:     hidden_block_count_x
      - .offset:         84
        .size:           4
        .value_kind:     hidden_block_count_y
      - .offset:         88
        .size:           4
        .value_kind:     hidden_block_count_z
      - .offset:         92
        .size:           2
        .value_kind:     hidden_group_size_x
      - .offset:         94
        .size:           2
        .value_kind:     hidden_group_size_y
      - .offset:         96
        .size:           2
        .value_kind:     hidden_group_size_z
      - .offset:         98
        .size:           2
        .value_kind:     hidden_remainder_x
      - .offset:         100
        .size:           2
        .value_kind:     hidden_remainder_y
      - .offset:         102
        .size:           2
        .value_kind:     hidden_remainder_z
      - .offset:         120
        .size:           8
        .value_kind:     hidden_global_offset_x
      - .offset:         128
        .size:           8
        .value_kind:     hidden_global_offset_y
      - .offset:         136
        .size:           8
        .value_kind:     hidden_global_offset_z
      - .offset:         144
        .size:           2
        .value_kind:     hidden_grid_dims
    .group_segment_fixed_size: 0
    .kernarg_segment_align: 8
    .kernarg_segment_size: 336
    .language:       OpenCL C
    .language_version:
      - 2
      - 0
    .max_flat_workgroup_size: 1024
    .name:           _Z5gaborPdjjdddddddd
    .private_segment_fixed_size: 0
    .sgpr_count:     24
    .sgpr_spill_count: 0
    .symbol:         _Z5gaborPdjjdddddddd.kd
    .uniform_work_group_size: 1
    .uses_dynamic_stack: false
    .vgpr_count:     42
    .vgpr_spill_count: 0
    .wavefront_size: 32
amdhsa.target:   amdgcn-amd-amdhsa--gfx1250
amdhsa.version:
  - 1
  - 2
...

	.end_amdgpu_metadata
